;; amdgpu-corpus repo=ROCm/rocFFT kind=compiled arch=gfx1030 opt=O3
	.text
	.amdgcn_target "amdgcn-amd-amdhsa--gfx1030"
	.amdhsa_code_object_version 6
	.protected	fft_rtc_back_len26_factors_13_2_wgs_64_tpt_2_halfLds_sp_ip_CI_sbrr_dirReg ; -- Begin function fft_rtc_back_len26_factors_13_2_wgs_64_tpt_2_halfLds_sp_ip_CI_sbrr_dirReg
	.globl	fft_rtc_back_len26_factors_13_2_wgs_64_tpt_2_halfLds_sp_ip_CI_sbrr_dirReg
	.p2align	8
	.type	fft_rtc_back_len26_factors_13_2_wgs_64_tpt_2_halfLds_sp_ip_CI_sbrr_dirReg,@function
fft_rtc_back_len26_factors_13_2_wgs_64_tpt_2_halfLds_sp_ip_CI_sbrr_dirReg: ; @fft_rtc_back_len26_factors_13_2_wgs_64_tpt_2_halfLds_sp_ip_CI_sbrr_dirReg
; %bb.0:
	s_clause 0x2
	s_load_dwordx2 s[14:15], s[4:5], 0x18
	s_load_dwordx4 s[8:11], s[4:5], 0x0
	s_load_dwordx2 s[12:13], s[4:5], 0x50
	v_lshrrev_b32_e32 v10, 1, v0
	v_mov_b32_e32 v3, 0
	v_mov_b32_e32 v1, 0
	;; [unrolled: 1-line block ×3, first 2 shown]
	v_lshl_or_b32 v5, s6, 5, v10
	v_mov_b32_e32 v6, v3
	s_waitcnt lgkmcnt(0)
	s_load_dwordx2 s[2:3], s[14:15], 0x0
	v_cmp_lt_u64_e64 s0, s[10:11], 2
	s_and_b32 vcc_lo, exec_lo, s0
	s_cbranch_vccnz .LBB0_8
; %bb.1:
	s_load_dwordx2 s[0:1], s[4:5], 0x10
	v_mov_b32_e32 v1, 0
	s_add_u32 s6, s14, 8
	v_mov_b32_e32 v2, 0
	s_addc_u32 s7, s15, 0
	s_mov_b64 s[18:19], 1
	s_waitcnt lgkmcnt(0)
	s_add_u32 s16, s0, 8
	s_addc_u32 s17, s1, 0
.LBB0_2:                                ; =>This Inner Loop Header: Depth=1
	s_load_dwordx2 s[20:21], s[16:17], 0x0
                                        ; implicit-def: $vgpr7_vgpr8
	s_mov_b32 s0, exec_lo
	s_waitcnt lgkmcnt(0)
	v_or_b32_e32 v4, s21, v6
	v_cmpx_ne_u64_e32 0, v[3:4]
	s_xor_b32 s1, exec_lo, s0
	s_cbranch_execz .LBB0_4
; %bb.3:                                ;   in Loop: Header=BB0_2 Depth=1
	v_cvt_f32_u32_e32 v4, s20
	v_cvt_f32_u32_e32 v7, s21
	s_sub_u32 s0, 0, s20
	s_subb_u32 s22, 0, s21
	v_fmac_f32_e32 v4, 0x4f800000, v7
	v_rcp_f32_e32 v4, v4
	v_mul_f32_e32 v4, 0x5f7ffffc, v4
	v_mul_f32_e32 v7, 0x2f800000, v4
	v_trunc_f32_e32 v7, v7
	v_fmac_f32_e32 v4, 0xcf800000, v7
	v_cvt_u32_f32_e32 v7, v7
	v_cvt_u32_f32_e32 v4, v4
	v_mul_lo_u32 v8, s0, v7
	v_mul_hi_u32 v9, s0, v4
	v_mul_lo_u32 v11, s22, v4
	v_add_nc_u32_e32 v8, v9, v8
	v_mul_lo_u32 v9, s0, v4
	v_add_nc_u32_e32 v8, v8, v11
	v_mul_hi_u32 v11, v4, v9
	v_mul_lo_u32 v12, v4, v8
	v_mul_hi_u32 v13, v4, v8
	v_mul_hi_u32 v14, v7, v9
	v_mul_lo_u32 v9, v7, v9
	v_mul_hi_u32 v15, v7, v8
	v_mul_lo_u32 v8, v7, v8
	v_add_co_u32 v11, vcc_lo, v11, v12
	v_add_co_ci_u32_e32 v12, vcc_lo, 0, v13, vcc_lo
	v_add_co_u32 v9, vcc_lo, v11, v9
	v_add_co_ci_u32_e32 v9, vcc_lo, v12, v14, vcc_lo
	v_add_co_ci_u32_e32 v11, vcc_lo, 0, v15, vcc_lo
	v_add_co_u32 v8, vcc_lo, v9, v8
	v_add_co_ci_u32_e32 v9, vcc_lo, 0, v11, vcc_lo
	v_add_co_u32 v4, vcc_lo, v4, v8
	v_add_co_ci_u32_e32 v7, vcc_lo, v7, v9, vcc_lo
	v_mul_hi_u32 v8, s0, v4
	v_mul_lo_u32 v11, s22, v4
	v_mul_lo_u32 v9, s0, v7
	v_add_nc_u32_e32 v8, v8, v9
	v_mul_lo_u32 v9, s0, v4
	v_add_nc_u32_e32 v8, v8, v11
	v_mul_hi_u32 v11, v4, v9
	v_mul_lo_u32 v12, v4, v8
	v_mul_hi_u32 v13, v4, v8
	v_mul_hi_u32 v14, v7, v9
	v_mul_lo_u32 v9, v7, v9
	v_mul_hi_u32 v15, v7, v8
	v_mul_lo_u32 v8, v7, v8
	v_add_co_u32 v11, vcc_lo, v11, v12
	v_add_co_ci_u32_e32 v12, vcc_lo, 0, v13, vcc_lo
	v_add_co_u32 v9, vcc_lo, v11, v9
	v_add_co_ci_u32_e32 v9, vcc_lo, v12, v14, vcc_lo
	v_add_co_ci_u32_e32 v11, vcc_lo, 0, v15, vcc_lo
	v_add_co_u32 v8, vcc_lo, v9, v8
	v_add_co_ci_u32_e32 v9, vcc_lo, 0, v11, vcc_lo
	v_add_co_u32 v4, vcc_lo, v4, v8
	v_add_co_ci_u32_e32 v9, vcc_lo, v7, v9, vcc_lo
	v_mul_hi_u32 v15, v5, v4
	v_mad_u64_u32 v[11:12], null, v6, v4, 0
	v_mad_u64_u32 v[7:8], null, v5, v9, 0
	;; [unrolled: 1-line block ×3, first 2 shown]
	v_add_co_u32 v4, vcc_lo, v15, v7
	v_add_co_ci_u32_e32 v7, vcc_lo, 0, v8, vcc_lo
	v_add_co_u32 v4, vcc_lo, v4, v11
	v_add_co_ci_u32_e32 v4, vcc_lo, v7, v12, vcc_lo
	v_add_co_ci_u32_e32 v7, vcc_lo, 0, v14, vcc_lo
	v_add_co_u32 v4, vcc_lo, v4, v13
	v_add_co_ci_u32_e32 v9, vcc_lo, 0, v7, vcc_lo
	v_mul_lo_u32 v11, s21, v4
	v_mad_u64_u32 v[7:8], null, s20, v4, 0
	v_mul_lo_u32 v12, s20, v9
	v_sub_co_u32 v7, vcc_lo, v5, v7
	v_add3_u32 v8, v8, v12, v11
	v_sub_nc_u32_e32 v11, v6, v8
	v_subrev_co_ci_u32_e64 v11, s0, s21, v11, vcc_lo
	v_add_co_u32 v12, s0, v4, 2
	v_add_co_ci_u32_e64 v13, s0, 0, v9, s0
	v_sub_co_u32 v14, s0, v7, s20
	v_sub_co_ci_u32_e32 v8, vcc_lo, v6, v8, vcc_lo
	v_subrev_co_ci_u32_e64 v11, s0, 0, v11, s0
	v_cmp_le_u32_e32 vcc_lo, s20, v14
	v_cmp_eq_u32_e64 s0, s21, v8
	v_cndmask_b32_e64 v14, 0, -1, vcc_lo
	v_cmp_le_u32_e32 vcc_lo, s21, v11
	v_cndmask_b32_e64 v15, 0, -1, vcc_lo
	v_cmp_le_u32_e32 vcc_lo, s20, v7
	;; [unrolled: 2-line block ×3, first 2 shown]
	v_cndmask_b32_e64 v16, 0, -1, vcc_lo
	v_cmp_eq_u32_e32 vcc_lo, s21, v11
	v_cndmask_b32_e64 v7, v16, v7, s0
	v_cndmask_b32_e32 v11, v15, v14, vcc_lo
	v_add_co_u32 v14, vcc_lo, v4, 1
	v_add_co_ci_u32_e32 v15, vcc_lo, 0, v9, vcc_lo
	v_cmp_ne_u32_e32 vcc_lo, 0, v11
	v_cndmask_b32_e32 v8, v15, v13, vcc_lo
	v_cndmask_b32_e32 v11, v14, v12, vcc_lo
	v_cmp_ne_u32_e32 vcc_lo, 0, v7
	v_cndmask_b32_e32 v8, v9, v8, vcc_lo
	v_cndmask_b32_e32 v7, v4, v11, vcc_lo
.LBB0_4:                                ;   in Loop: Header=BB0_2 Depth=1
	s_andn2_saveexec_b32 s0, s1
	s_cbranch_execz .LBB0_6
; %bb.5:                                ;   in Loop: Header=BB0_2 Depth=1
	v_cvt_f32_u32_e32 v4, s20
	s_sub_i32 s1, 0, s20
	v_rcp_iflag_f32_e32 v4, v4
	v_mul_f32_e32 v4, 0x4f7ffffe, v4
	v_cvt_u32_f32_e32 v4, v4
	v_mul_lo_u32 v7, s1, v4
	v_mul_hi_u32 v7, v4, v7
	v_add_nc_u32_e32 v4, v4, v7
	v_mul_hi_u32 v4, v5, v4
	v_mul_lo_u32 v7, v4, s20
	v_add_nc_u32_e32 v8, 1, v4
	v_sub_nc_u32_e32 v7, v5, v7
	v_subrev_nc_u32_e32 v9, s20, v7
	v_cmp_le_u32_e32 vcc_lo, s20, v7
	v_cndmask_b32_e32 v7, v7, v9, vcc_lo
	v_cndmask_b32_e32 v4, v4, v8, vcc_lo
	v_cmp_le_u32_e32 vcc_lo, s20, v7
	v_add_nc_u32_e32 v8, 1, v4
	v_cndmask_b32_e32 v7, v4, v8, vcc_lo
	v_mov_b32_e32 v8, v3
.LBB0_6:                                ;   in Loop: Header=BB0_2 Depth=1
	s_or_b32 exec_lo, exec_lo, s0
	s_load_dwordx2 s[0:1], s[6:7], 0x0
	v_mul_lo_u32 v4, v8, s20
	v_mul_lo_u32 v9, v7, s21
	v_mad_u64_u32 v[11:12], null, v7, s20, 0
	s_add_u32 s18, s18, 1
	s_addc_u32 s19, s19, 0
	s_add_u32 s6, s6, 8
	s_addc_u32 s7, s7, 0
	;; [unrolled: 2-line block ×3, first 2 shown]
	v_add3_u32 v4, v12, v9, v4
	v_sub_co_u32 v5, vcc_lo, v5, v11
	v_sub_co_ci_u32_e32 v4, vcc_lo, v6, v4, vcc_lo
	s_waitcnt lgkmcnt(0)
	v_mul_lo_u32 v6, s1, v5
	v_mul_lo_u32 v4, s0, v4
	v_mad_u64_u32 v[1:2], null, s0, v5, v[1:2]
	v_cmp_ge_u64_e64 s0, s[18:19], s[10:11]
	s_and_b32 vcc_lo, exec_lo, s0
	v_add3_u32 v2, v6, v2, v4
	s_cbranch_vccnz .LBB0_9
; %bb.7:                                ;   in Loop: Header=BB0_2 Depth=1
	v_mov_b32_e32 v5, v7
	v_mov_b32_e32 v6, v8
	s_branch .LBB0_2
.LBB0_8:
	v_mov_b32_e32 v8, v6
	v_mov_b32_e32 v7, v5
.LBB0_9:
	s_lshl_b64 s[0:1], s[10:11], 3
	v_and_b32_e32 v47, 1, v0
	s_add_u32 s0, s14, s0
	s_addc_u32 s1, s15, s1
                                        ; implicit-def: $vgpr9
                                        ; implicit-def: $vgpr11
                                        ; implicit-def: $vgpr5
	s_load_dwordx2 s[0:1], s[0:1], 0x0
	s_load_dwordx2 s[4:5], s[4:5], 0x20
	v_or_b32_e32 v52, 2, v47
	v_or_b32_e32 v51, 4, v47
	;; [unrolled: 1-line block ×5, first 2 shown]
	s_waitcnt lgkmcnt(0)
	v_mul_lo_u32 v0, s0, v8
	v_mul_lo_u32 v4, s1, v7
	v_mad_u64_u32 v[2:3], null, s0, v7, v[1:2]
	v_cmp_gt_u64_e32 vcc_lo, s[4:5], v[7:8]
	v_cmp_le_u64_e64 s0, s[4:5], v[7:8]
                                        ; implicit-def: $sgpr4_sgpr5
                                        ; implicit-def: $vgpr7
	v_add3_u32 v3, v4, v3, v0
                                        ; implicit-def: $vgpr4
	s_and_saveexec_b32 s1, s0
	s_xor_b32 s0, exec_lo, s1
; %bb.10:
	v_or_b32_e32 v4, 2, v47
	v_or_b32_e32 v7, 4, v47
	;; [unrolled: 1-line block ×5, first 2 shown]
	s_mov_b64 s[4:5], 0
; %bb.11:
	s_or_saveexec_b32 s1, s0
	v_mul_lo_u32 v1, s3, v47
	v_mul_lo_u32 v0, s2, v47
	v_lshlrev_b64 v[2:3], 3, v[2:3]
	v_mov_b32_e32 v28, s5
	v_mov_b32_e32 v27, s4
                                        ; implicit-def: $vgpr40
                                        ; implicit-def: $vgpr38
                                        ; implicit-def: $vgpr30
                                        ; implicit-def: $vgpr34
                                        ; implicit-def: $vgpr26
                                        ; implicit-def: $vgpr16
                                        ; implicit-def: $vgpr32
                                        ; implicit-def: $vgpr42
                                        ; implicit-def: $vgpr44
                                        ; implicit-def: $vgpr46
                                        ; implicit-def: $vgpr36
                                        ; implicit-def: $vgpr20
	s_xor_b32 exec_lo, exec_lo, s1
	s_cbranch_execz .LBB0_13
; %bb.12:
	v_mad_u64_u32 v[4:5], null, s2, v52, 0
	v_mad_u64_u32 v[6:7], null, s2, v51, 0
	;; [unrolled: 1-line block ×4, first 2 shown]
	v_add_co_u32 v41, s0, s12, v2
	v_mad_u64_u32 v[11:12], null, s3, v52, v[5:6]
	v_lshlrev_b64 v[12:13], 3, v[0:1]
	v_add_co_ci_u32_e64 v42, s0, s13, v3, s0
	v_mad_u64_u32 v[16:17], null, s3, v51, v[7:8]
	v_mad_u64_u32 v[17:18], null, s3, v50, v[9:10]
	v_mov_b32_e32 v5, v11
	v_add_co_u32 v11, s0, v41, v12
	v_add_co_ci_u32_e64 v12, s0, v42, v13, s0
	v_mov_b32_e32 v13, v15
	v_mov_b32_e32 v7, v16
	;; [unrolled: 1-line block ×3, first 2 shown]
	v_lshlrev_b64 v[4:5], 3, v[4:5]
	v_or_b32_e32 v22, 12, v47
	v_mad_u64_u32 v[15:16], null, s3, v49, v[13:14]
	v_mad_u64_u32 v[16:17], null, s2, v48, 0
	v_lshlrev_b64 v[6:7], 3, v[6:7]
	v_add_co_u32 v4, s0, v41, v4
	v_lshlrev_b64 v[8:9], 3, v[8:9]
	v_add_co_ci_u32_e64 v5, s0, v42, v5, s0
	v_mov_b32_e32 v13, v17
	v_add_co_u32 v6, s0, v41, v6
	v_add_co_ci_u32_e64 v7, s0, v42, v7, s0
	v_mad_u64_u32 v[18:19], null, s2, v22, 0
	v_mad_u64_u32 v[20:21], null, s3, v48, v[13:14]
	v_or_b32_e32 v13, 14, v47
	v_add_co_u32 v8, s0, v41, v8
	v_add_co_ci_u32_e64 v9, s0, v42, v9, s0
	s_clause 0x3
	global_load_dwordx2 v[27:28], v[11:12], off
	global_load_dwordx2 v[39:40], v[4:5], off
	;; [unrolled: 1-line block ×4, first 2 shown]
	v_mad_u64_u32 v[7:8], null, s2, v13, 0
	v_mov_b32_e32 v6, v19
	v_mov_b32_e32 v17, v20
	v_lshlrev_b64 v[4:5], 3, v[14:15]
	v_or_b32_e32 v20, 16, v47
	v_or_b32_e32 v43, 22, v47
	;; [unrolled: 1-line block ×3, first 2 shown]
	v_mad_u64_u32 v[11:12], null, s3, v22, v[6:7]
	v_mov_b32_e32 v6, v8
	v_lshlrev_b64 v[8:9], 3, v[16:17]
	v_add_co_u32 v4, s0, v41, v4
	v_add_co_ci_u32_e64 v5, s0, v42, v5, s0
	v_mov_b32_e32 v19, v11
	v_mad_u64_u32 v[11:12], null, s3, v13, v[6:7]
	v_mad_u64_u32 v[12:13], null, s2, v20, 0
	v_add_co_u32 v14, s0, v41, v8
	v_add_co_ci_u32_e64 v15, s0, v42, v9, s0
	v_mov_b32_e32 v8, v11
	v_or_b32_e32 v9, 18, v47
	v_lshlrev_b64 v[16:17], 3, v[18:19]
	v_mov_b32_e32 v6, v13
	v_or_b32_e32 v11, 20, v47
	v_lshlrev_b64 v[7:8], 3, v[7:8]
	v_mad_u64_u32 v[21:22], null, s2, v9, 0
	v_add_co_u32 v16, s0, v41, v16
	v_mad_u64_u32 v[23:24], null, s2, v11, 0
	v_mad_u64_u32 v[18:19], null, s3, v20, v[6:7]
	v_add_co_ci_u32_e64 v17, s0, v42, v17, s0
	v_mov_b32_e32 v6, v22
	v_add_co_u32 v7, s0, v41, v7
	v_mad_u64_u32 v[31:32], null, s2, v43, 0
	v_mov_b32_e32 v13, v18
	v_mad_u64_u32 v[18:19], null, s3, v9, v[6:7]
	v_mov_b32_e32 v6, v24
	v_add_co_ci_u32_e64 v8, s0, v42, v8, s0
	v_mad_u64_u32 v[35:36], null, s2, v44, 0
	v_mad_u64_u32 v[24:25], null, s3, v11, v[6:7]
	s_clause 0x3
	global_load_dwordx2 v[33:34], v[4:5], off
	global_load_dwordx2 v[25:26], v[14:15], off
	;; [unrolled: 1-line block ×4, first 2 shown]
	v_lshlrev_b64 v[5:6], 3, v[12:13]
	v_mov_b32_e32 v4, v32
	v_mov_b32_e32 v22, v18
	v_mad_u64_u32 v[7:8], null, s3, v43, v[4:5]
	v_mov_b32_e32 v4, v36
	v_add_co_u32 v5, s0, v41, v5
	v_lshlrev_b64 v[8:9], 3, v[21:22]
	v_add_co_ci_u32_e64 v6, s0, v42, v6, s0
	v_mad_u64_u32 v[11:12], null, s3, v44, v[4:5]
	v_lshlrev_b64 v[12:13], 3, v[23:24]
	v_mov_b32_e32 v32, v7
	v_add_co_u32 v7, s0, v41, v8
	v_add_co_ci_u32_e64 v8, s0, v42, v9, s0
	v_mov_b32_e32 v36, v11
	v_lshlrev_b64 v[17:18], 3, v[31:32]
	v_add_co_u32 v11, s0, v41, v12
	v_add_co_ci_u32_e64 v12, s0, v42, v13, s0
	v_lshlrev_b64 v[13:14], 3, v[35:36]
	v_add_co_u32 v17, s0, v41, v17
	v_add_co_ci_u32_e64 v18, s0, v42, v18, s0
	v_mov_b32_e32 v9, v50
	v_add_co_u32 v13, s0, v41, v13
	v_add_co_ci_u32_e64 v14, s0, v42, v14, s0
	s_clause 0x4
	global_load_dwordx2 v[31:32], v[5:6], off
	global_load_dwordx2 v[35:36], v[7:8], off
	;; [unrolled: 1-line block ×5, first 2 shown]
	v_mov_b32_e32 v5, v48
	v_mov_b32_e32 v11, v49
	;; [unrolled: 1-line block ×4, first 2 shown]
.LBB0_13:
	s_or_b32 exec_lo, exec_lo, s1
	s_waitcnt vmcnt(11)
	v_add_f32_e32 v6, v39, v27
	v_mul_u32_u24_e32 v8, 26, v10
	s_waitcnt vmcnt(0)
	v_sub_f32_e32 v10, v40, v44
	v_add_f32_e32 v12, v39, v43
	v_sub_f32_e32 v14, v38, v46
	v_add_f32_e32 v6, v37, v6
	v_add_f32_e32 v13, v37, v45
	v_mul_f32_e32 v17, 0xbeedf032, v10
	v_mul_f32_e32 v18, 0xbf52af12, v10
	;; [unrolled: 1-line block ×3, first 2 shown]
	v_add_f32_e32 v6, v29, v6
	v_mul_f32_e32 v22, 0xbf6f5d39, v10
	v_mul_f32_e32 v23, 0xbf29c268, v10
	;; [unrolled: 1-line block ×4, first 2 shown]
	v_add_f32_e32 v6, v33, v6
	v_fmamk_f32 v55, v12, 0x3f62ad3f, v17
	v_fma_f32 v17, 0x3f62ad3f, v12, -v17
	v_mul_f32_e32 v53, 0xbf6f5d39, v14
	v_fmamk_f32 v56, v12, 0x3f116cb1, v18
	v_add_f32_e32 v6, v25, v6
	v_fma_f32 v18, 0x3f116cb1, v12, -v18
	v_fmamk_f32 v57, v12, 0x3df6dbef, v21
	v_fma_f32 v21, 0x3df6dbef, v12, -v21
	v_fmamk_f32 v58, v12, 0xbeb58ec6, v22
	v_add_f32_e32 v6, v15, v6
	v_fma_f32 v22, 0xbeb58ec6, v12, -v22
	v_fmamk_f32 v59, v12, 0xbf3f9e67, v23
	v_fma_f32 v23, 0xbf3f9e67, v12, -v23
	;; [unrolled: 5-line block ×3, first 2 shown]
	v_add_f32_e32 v17, v17, v27
	v_add_f32_e32 v6, v31, v6
	v_mul_f32_e32 v54, 0xbe750f2a, v14
	v_fmamk_f32 v61, v13, 0xbeb58ec6, v53
	v_fma_f32 v53, 0xbeb58ec6, v13, -v53
	v_add_f32_e32 v55, v55, v27
	v_add_f32_e32 v6, v35, v6
	;; [unrolled: 1-line block ×17, first 2 shown]
	v_mul_f32_e32 v6, 0x3f29c268, v14
	v_add_f32_e32 v27, v61, v56
	v_fmamk_f32 v55, v13, 0xbf788fa5, v54
	v_add_f32_e32 v18, v53, v18
	v_fma_f32 v53, 0xbf788fa5, v13, -v54
	v_fmamk_f32 v54, v13, 0xbf3f9e67, v6
	v_fma_f32 v6, 0xbf3f9e67, v13, -v6
	v_mul_f32_e32 v56, 0x3f7e222b, v14
	v_mul_f32_e32 v14, 0x3eedf032, v14
	v_add_f32_e32 v21, v53, v21
	v_add_f32_e32 v53, v54, v58
	;; [unrolled: 1-line block ×3, first 2 shown]
	v_sub_f32_e32 v22, v30, v42
	v_fmamk_f32 v54, v13, 0x3df6dbef, v56
	v_add_f32_e32 v55, v55, v57
	v_fma_f32 v56, 0x3df6dbef, v13, -v56
	v_add_f32_e32 v57, v29, v41
	v_mul_f32_e32 v58, 0xbf7e222b, v22
	v_add_f32_e32 v54, v54, v59
	v_fmamk_f32 v59, v13, 0x3f62ad3f, v14
	v_fma_f32 v13, 0x3f62ad3f, v13, -v14
	v_add_f32_e32 v14, v56, v23
	v_fmamk_f32 v23, v57, 0x3df6dbef, v58
	v_mul_f32_e32 v56, 0xbe750f2a, v22
	v_add_f32_e32 v59, v59, v60
	v_add_f32_e32 v10, v13, v10
	v_fma_f32 v13, 0x3df6dbef, v57, -v58
	v_add_f32_e32 v12, v23, v12
	v_fmamk_f32 v23, v57, 0xbf788fa5, v56
	v_mul_f32_e32 v58, 0x3f6f5d39, v22
	v_fma_f32 v56, 0xbf788fa5, v57, -v56
	v_add_f32_e32 v13, v13, v17
	v_mul_f32_e32 v17, 0x3eedf032, v22
	v_add_f32_e32 v23, v23, v27
	v_fmamk_f32 v27, v57, 0xbeb58ec6, v58
	v_add_f32_e32 v18, v56, v18
	v_fma_f32 v56, 0xbeb58ec6, v57, -v58
	v_fmamk_f32 v58, v57, 0x3f62ad3f, v17
	v_fma_f32 v17, 0x3f62ad3f, v57, -v17
	v_add_f32_e32 v27, v27, v55
	v_mul_f32_e32 v55, 0xbf52af12, v22
	v_add_f32_e32 v21, v56, v21
	v_add_f32_e32 v53, v58, v53
	;; [unrolled: 1-line block ×3, first 2 shown]
	v_sub_f32_e32 v17, v34, v36
	v_fmamk_f32 v56, v57, 0x3f116cb1, v55
	v_mul_f32_e32 v22, 0xbf29c268, v22
	v_fma_f32 v55, 0x3f116cb1, v57, -v55
	v_add_f32_e32 v58, v33, v35
	v_mul_f32_e32 v60, 0xbf6f5d39, v17
	v_add_f32_e32 v54, v56, v54
	v_fmamk_f32 v56, v57, 0xbf3f9e67, v22
	v_add_f32_e32 v14, v55, v14
	v_fma_f32 v22, 0xbf3f9e67, v57, -v22
	v_fmamk_f32 v55, v58, 0xbeb58ec6, v60
	v_mul_f32_e32 v57, 0x3f29c268, v17
	v_add_f32_e32 v56, v56, v59
	v_fma_f32 v59, 0xbeb58ec6, v58, -v60
	v_add_f32_e32 v10, v22, v10
	v_add_f32_e32 v12, v55, v12
	v_fmamk_f32 v22, v58, 0xbf3f9e67, v57
	v_mul_f32_e32 v55, 0x3eedf032, v17
	v_add_f32_e32 v13, v59, v13
	v_fma_f32 v57, 0xbf3f9e67, v58, -v57
	v_mul_f32_e32 v59, 0xbf7e222b, v17
	v_add_f32_e32 v22, v22, v23
	v_fmamk_f32 v23, v58, 0x3f62ad3f, v55
	v_fma_f32 v55, 0x3f62ad3f, v58, -v55
	v_add_f32_e32 v18, v57, v18
	v_fmamk_f32 v57, v58, 0x3df6dbef, v59
	v_fma_f32 v59, 0x3df6dbef, v58, -v59
	v_add_f32_e32 v23, v23, v27
	v_add_f32_e32 v21, v55, v21
	v_mul_f32_e32 v27, 0x3e750f2a, v17
	v_sub_f32_e32 v55, v26, v32
	v_mul_f32_e32 v17, 0x3f52af12, v17
	v_add_f32_e32 v53, v57, v53
	v_add_f32_e32 v6, v59, v6
	v_fmamk_f32 v57, v58, 0xbf788fa5, v27
	v_fma_f32 v27, 0xbf788fa5, v58, -v27
	v_add_f32_e32 v59, v25, v31
	v_mul_f32_e32 v60, 0xbf29c268, v55
	v_fmamk_f32 v61, v58, 0x3f116cb1, v17
	v_fma_f32 v17, 0x3f116cb1, v58, -v17
	v_add_f32_e32 v54, v57, v54
	v_add_f32_e32 v14, v27, v14
	v_fmamk_f32 v27, v59, 0xbf3f9e67, v60
	v_mul_f32_e32 v57, 0x3f7e222b, v55
	v_fma_f32 v58, 0xbf3f9e67, v59, -v60
	v_add_f32_e32 v10, v17, v10
	v_mul_f32_e32 v17, 0xbf52af12, v55
	v_add_f32_e32 v12, v27, v12
	v_fmamk_f32 v27, v59, 0x3df6dbef, v57
	v_add_f32_e32 v13, v58, v13
	v_mul_f32_e32 v58, 0x3e750f2a, v55
	v_fma_f32 v57, 0x3df6dbef, v59, -v57
	v_fmamk_f32 v60, v59, 0x3f116cb1, v17
	v_fma_f32 v17, 0x3f116cb1, v59, -v17
	v_add_f32_e32 v22, v27, v22
	v_fmamk_f32 v27, v59, 0xbf788fa5, v58
	v_add_f32_e32 v18, v57, v18
	v_fma_f32 v57, 0xbf788fa5, v59, -v58
	v_add_f32_e32 v17, v17, v21
	v_mul_f32_e32 v21, 0x3eedf032, v55
	v_add_f32_e32 v27, v27, v53
	v_mul_f32_e32 v53, 0xbf6f5d39, v55
	v_sub_f32_e32 v55, v16, v20
	v_add_f32_e32 v6, v57, v6
	v_fmamk_f32 v57, v59, 0x3f62ad3f, v21
	v_fma_f32 v21, 0x3f62ad3f, v59, -v21
	v_add_f32_e32 v56, v61, v56
	v_add_f32_e32 v23, v60, v23
	v_fmamk_f32 v58, v59, 0xbeb58ec6, v53
	v_add_f32_e32 v60, v15, v19
	v_mul_f32_e32 v61, 0xbe750f2a, v55
	v_add_f32_e32 v14, v21, v14
	v_fma_f32 v21, 0xbeb58ec6, v59, -v53
	v_add_f32_e32 v54, v57, v54
	v_add_f32_e32 v53, v58, v56
	v_fmamk_f32 v56, v60, 0xbf788fa5, v61
	v_mul_f32_e32 v57, 0x3eedf032, v55
	v_fma_f32 v58, 0xbf788fa5, v60, -v61
	v_add_f32_e32 v10, v21, v10
	v_mul_f32_e32 v21, 0xbf29c268, v55
	v_add_f32_e32 v12, v56, v12
	v_fmamk_f32 v56, v60, 0x3f62ad3f, v57
	v_fma_f32 v57, 0x3f62ad3f, v60, -v57
	v_mul_f32_e32 v59, 0x3f52af12, v55
	v_add_f32_e32 v13, v58, v13
	v_fmamk_f32 v58, v60, 0xbf3f9e67, v21
	v_fma_f32 v21, 0xbf3f9e67, v60, -v21
	v_add_f32_e32 v22, v56, v22
	v_add_f32_e32 v18, v57, v18
	v_fmamk_f32 v56, v60, 0x3f116cb1, v59
	v_fma_f32 v57, 0x3f116cb1, v60, -v59
	v_add_f32_e32 v17, v21, v17
	v_mul_f32_e32 v21, 0xbf6f5d39, v55
	v_mul_f32_e32 v55, 0x3f7e222b, v55
	v_add_f32_e32 v27, v56, v27
	v_add_f32_e32 v56, v57, v6
	v_lshl_add_u32 v6, v8, 2, 0
	v_fmamk_f32 v57, v60, 0xbeb58ec6, v21
	v_add_f32_e32 v23, v58, v23
	v_fmamk_f32 v58, v60, 0x3df6dbef, v55
	v_fma_f32 v55, 0x3df6dbef, v60, -v55
	v_fma_f32 v21, 0xbeb58ec6, v60, -v21
	v_mad_u32_u24 v8, v47, 52, v6
	v_add_f32_e32 v54, v57, v54
	v_add_f32_e32 v53, v58, v53
	;; [unrolled: 1-line block ×4, first 2 shown]
	ds_write2_b32 v8, v24, v12 offset1:1
	ds_write2_b32 v8, v22, v23 offset0:2 offset1:3
	ds_write2_b32 v8, v27, v54 offset0:4 offset1:5
	;; [unrolled: 1-line block ×5, first 2 shown]
	ds_write_b32 v8, v13 offset:48
	v_mad_i32_i24 v10, 0xffffffd0, v47, v8
	v_lshl_add_u32 v12, v47, 2, v6
	v_lshl_add_u32 v59, v4, 2, v6
	;; [unrolled: 1-line block ×5, first 2 shown]
	s_waitcnt lgkmcnt(0)
	s_barrier
	buffer_gl0_inv
	ds_read2_b32 v[17:18], v10 offset0:13 offset1:15
	ds_read2_b32 v[21:22], v10 offset0:17 offset1:19
	;; [unrolled: 1-line block ×3, first 2 shown]
	v_lshl_add_u32 v63, v5, 2, v6
	ds_read_b32 v55, v12
	ds_read_b32 v54, v59
	;; [unrolled: 1-line block ×6, first 2 shown]
	v_cmp_eq_u32_e64 s0, 0, v47
	s_and_saveexec_b32 s1, s0
	s_cbranch_execz .LBB0_15
; %bb.14:
	ds_read2_b32 v[13:14], v6 offset0:12 offset1:25
.LBB0_15:
	s_or_b32 exec_lo, exec_lo, s1
	v_add_f32_e32 v27, v40, v28
	v_sub_f32_e32 v39, v39, v43
	v_add_f32_e32 v40, v40, v44
	v_sub_f32_e32 v37, v37, v45
	v_add_f32_e32 v43, v38, v46
	v_add_f32_e32 v27, v38, v27
	v_mul_f32_e32 v45, 0xbf52af12, v39
	v_mul_f32_e32 v38, 0xbeedf032, v39
	;; [unrolled: 1-line block ×4, first 2 shown]
	v_add_f32_e32 v27, v30, v27
	v_fma_f32 v72, 0x3f116cb1, v40, -v45
	v_fmac_f32_e32 v45, 0x3f116cb1, v40
	v_mul_f32_e32 v66, 0xbf29c268, v39
	v_fma_f32 v77, 0xbeb58ec6, v43, -v68
	v_add_f32_e32 v27, v34, v27
	v_fmac_f32_e32 v68, 0xbeb58ec6, v43
	v_add_f32_e32 v45, v45, v28
	v_mul_f32_e32 v65, 0xbf6f5d39, v39
	v_mul_f32_e32 v39, 0xbe750f2a, v39
	v_add_f32_e32 v27, v26, v27
	v_mul_f32_e32 v67, 0xbf52af12, v37
	v_mul_f32_e32 v69, 0xbe750f2a, v37
	v_fma_f32 v71, 0x3f62ad3f, v40, -v38
	v_fmac_f32_e32 v38, 0x3f62ad3f, v40
	v_add_f32_e32 v27, v16, v27
	v_fma_f32 v73, 0x3df6dbef, v40, -v64
	v_fmac_f32_e32 v64, 0x3df6dbef, v40
	v_fma_f32 v75, 0xbf3f9e67, v40, -v66
	v_fmac_f32_e32 v66, 0xbf3f9e67, v40
	v_add_f32_e32 v27, v20, v27
	v_add_f32_e32 v45, v68, v45
	v_mul_f32_e32 v68, 0x3f7e222b, v37
	v_sub_f32_e32 v29, v29, v41
	v_mul_f32_e32 v70, 0x3f29c268, v37
	v_add_f32_e32 v27, v32, v27
	v_fma_f32 v74, 0xbeb58ec6, v40, -v65
	v_fmac_f32_e32 v65, 0xbeb58ec6, v40
	v_fma_f32 v76, 0xbf788fa5, v40, -v39
	v_fmac_f32_e32 v39, 0xbf788fa5, v40
	v_add_f32_e32 v27, v36, v27
	v_fma_f32 v40, 0x3f116cb1, v43, -v67
	v_fmac_f32_e32 v67, 0x3f116cb1, v43
	v_add_f32_e32 v71, v71, v28
	v_add_f32_e32 v38, v38, v28
	;; [unrolled: 1-line block ×5, first 2 shown]
	v_fma_f32 v41, 0x3df6dbef, v43, -v68
	v_mul_f32_e32 v37, 0x3eedf032, v37
	v_add_f32_e32 v27, v46, v27
	v_fmac_f32_e32 v68, 0x3df6dbef, v43
	v_add_f32_e32 v30, v30, v42
	v_mul_f32_e32 v42, 0xbf7e222b, v29
	v_add_f32_e32 v72, v72, v28
	v_add_f32_e32 v27, v44, v27
	v_fma_f32 v44, 0xbf788fa5, v43, -v69
	v_fmac_f32_e32 v69, 0xbf788fa5, v43
	v_add_f32_e32 v73, v73, v28
	v_add_f32_e32 v74, v74, v28
	;; [unrolled: 1-line block ×8, first 2 shown]
	v_fma_f32 v67, 0xbf3f9e67, v43, -v70
	v_fmac_f32_e32 v70, 0xbf3f9e67, v43
	v_add_f32_e32 v64, v69, v64
	v_fma_f32 v69, 0x3f62ad3f, v43, -v37
	v_fmac_f32_e32 v37, 0x3f62ad3f, v43
	v_add_f32_e32 v43, v68, v66
	v_fma_f32 v66, 0x3df6dbef, v30, -v42
	v_mul_f32_e32 v68, 0xbe750f2a, v29
	v_add_f32_e32 v40, v77, v72
	v_add_f32_e32 v28, v37, v28
	;; [unrolled: 1-line block ×4, first 2 shown]
	v_fma_f32 v39, 0xbf788fa5, v30, -v68
	v_mul_f32_e32 v66, 0x3f6f5d39, v29
	v_fmac_f32_e32 v42, 0x3df6dbef, v30
	v_sub_f32_e32 v33, v33, v35
	v_add_f32_e32 v41, v41, v75
	v_add_f32_e32 v39, v39, v40
	v_fma_f32 v40, 0xbeb58ec6, v30, -v66
	v_fmac_f32_e32 v68, 0xbf788fa5, v30
	v_add_f32_e32 v38, v42, v38
	v_mul_f32_e32 v42, 0x3eedf032, v29
	v_add_f32_e32 v34, v34, v36
	v_add_f32_e32 v40, v40, v44
	v_mul_f32_e32 v44, 0xbf52af12, v29
	v_mul_f32_e32 v29, 0xbf29c268, v29
	v_mul_f32_e32 v36, 0xbf6f5d39, v33
	v_add_f32_e32 v45, v68, v45
	v_fmac_f32_e32 v66, 0xbeb58ec6, v30
	v_fma_f32 v35, 0x3f116cb1, v30, -v44
	v_fmac_f32_e32 v44, 0x3f116cb1, v30
	v_fma_f32 v68, 0x3f62ad3f, v30, -v42
	v_fmac_f32_e32 v42, 0x3f62ad3f, v30
	v_sub_f32_e32 v25, v25, v31
	v_add_f32_e32 v35, v35, v41
	v_fma_f32 v41, 0xbf3f9e67, v30, -v29
	v_fmac_f32_e32 v29, 0xbf3f9e67, v30
	v_add_f32_e32 v30, v44, v43
	v_fma_f32 v43, 0xbeb58ec6, v34, -v36
	v_mul_f32_e32 v44, 0x3f29c268, v33
	v_fmac_f32_e32 v36, 0xbeb58ec6, v34
	v_add_f32_e32 v28, v29, v28
	v_add_f32_e32 v26, v26, v32
	;; [unrolled: 1-line block ×3, first 2 shown]
	v_fma_f32 v37, 0xbf3f9e67, v34, -v44
	v_mul_f32_e32 v43, 0x3eedf032, v33
	v_fmac_f32_e32 v44, 0xbf3f9e67, v34
	v_add_f32_e32 v36, v36, v38
	v_mul_f32_e32 v38, 0xbf7e222b, v33
	v_add_f32_e32 v37, v37, v39
	v_fma_f32 v39, 0x3f62ad3f, v34, -v43
	v_mul_f32_e32 v32, 0xbf29c268, v25
	v_add_f32_e32 v44, v44, v45
	v_fmac_f32_e32 v43, 0x3f62ad3f, v34
	v_fma_f32 v45, 0x3df6dbef, v34, -v38
	v_add_f32_e32 v39, v39, v40
	v_mul_f32_e32 v40, 0x3e750f2a, v33
	v_mul_f32_e32 v33, 0x3f52af12, v33
	v_fmac_f32_e32 v38, 0x3df6dbef, v34
	v_add_f32_e32 v65, v70, v65
	v_add_f32_e32 v46, v69, v46
	v_fma_f32 v31, 0xbf788fa5, v34, -v40
	v_fmac_f32_e32 v40, 0xbf788fa5, v34
	v_sub_f32_e32 v19, v15, v19
	v_add_f32_e32 v42, v42, v65
	v_add_f32_e32 v41, v41, v46
	;; [unrolled: 1-line block ×3, first 2 shown]
	v_fma_f32 v35, 0x3f116cb1, v34, -v33
	v_add_f32_e32 v30, v40, v30
	v_fmac_f32_e32 v33, 0x3f116cb1, v34
	v_fma_f32 v34, 0xbf3f9e67, v26, -v32
	v_mul_f32_e32 v40, 0x3f7e222b, v25
	v_fmac_f32_e32 v32, 0xbf3f9e67, v26
	v_add_f32_e32 v38, v38, v42
	v_add_f32_e32 v28, v33, v28
	v_add_f32_e32 v29, v34, v29
	v_fma_f32 v33, 0x3df6dbef, v26, -v40
	v_mul_f32_e32 v34, 0xbf52af12, v25
	v_add_f32_e32 v32, v32, v36
	v_mul_f32_e32 v36, 0x3e750f2a, v25
	v_add_f32_e32 v35, v35, v41
	v_add_f32_e32 v33, v33, v37
	v_fma_f32 v37, 0x3f116cb1, v26, -v34
	v_mul_f32_e32 v15, 0xbf6f5d39, v25
	v_fma_f32 v41, 0xbf788fa5, v26, -v36
	v_fmac_f32_e32 v36, 0xbf788fa5, v26
	v_add_f32_e32 v16, v16, v20
	v_add_f32_e32 v37, v37, v39
	v_mul_f32_e32 v39, 0x3eedf032, v25
	v_mul_f32_e32 v20, 0xbe750f2a, v19
	v_add_f32_e32 v67, v67, v74
	v_fmac_f32_e32 v40, 0x3df6dbef, v26
	v_fmac_f32_e32 v34, 0x3f116cb1, v26
	v_add_f32_e32 v36, v36, v38
	v_fma_f32 v25, 0x3f62ad3f, v26, -v39
	v_fmac_f32_e32 v39, 0x3f62ad3f, v26
	v_fma_f32 v38, 0xbeb58ec6, v26, -v15
	v_fmac_f32_e32 v15, 0xbeb58ec6, v26
	v_fma_f32 v26, 0xbf788fa5, v16, -v20
	v_add_f32_e32 v64, v66, v64
	v_add_f32_e32 v66, v68, v67
	;; [unrolled: 1-line block ×4, first 2 shown]
	v_mul_f32_e32 v35, 0x3eedf032, v19
	v_fmac_f32_e32 v20, 0xbf788fa5, v16
	v_add_f32_e32 v26, v26, v29
	v_mul_f32_e32 v29, 0xbf29c268, v19
	v_add_f32_e32 v43, v43, v64
	v_add_f32_e32 v45, v45, v66
	;; [unrolled: 1-line block ×3, first 2 shown]
	v_fma_f32 v38, 0x3f62ad3f, v16, -v35
	v_add_f32_e32 v15, v20, v32
	v_mul_f32_e32 v20, 0x3f52af12, v19
	v_fma_f32 v32, 0xbf3f9e67, v16, -v29
	v_add_f32_e32 v34, v34, v43
	v_add_f32_e32 v41, v41, v45
	v_add_f32_e32 v33, v38, v33
	v_fmac_f32_e32 v29, 0xbf3f9e67, v16
	v_fma_f32 v38, 0x3f116cb1, v16, -v20
	v_add_f32_e32 v32, v32, v37
	v_mul_f32_e32 v37, 0xbf6f5d39, v19
	v_mul_f32_e32 v19, 0x3f7e222b, v19
	v_add_f32_e32 v29, v29, v34
	v_add_f32_e32 v34, v38, v41
	v_fmac_f32_e32 v20, 0x3f116cb1, v16
	v_fma_f32 v38, 0xbeb58ec6, v16, -v37
	v_add_f32_e32 v30, v39, v30
	v_fmac_f32_e32 v37, 0xbeb58ec6, v16
	v_fma_f32 v39, 0x3df6dbef, v16, -v19
	v_fmac_f32_e32 v19, 0x3df6dbef, v16
	v_add_f32_e32 v40, v40, v44
	v_fmac_f32_e32 v35, 0x3f62ad3f, v16
	v_add_f32_e32 v16, v20, v36
	v_add_f32_e32 v20, v38, v25
	;; [unrolled: 1-line block ×6, first 2 shown]
	s_waitcnt lgkmcnt(0)
	s_barrier
	buffer_gl0_inv
	ds_write2_b32 v8, v27, v26 offset1:1
	ds_write2_b32 v8, v33, v32 offset0:2 offset1:3
	ds_write2_b32 v8, v34, v20 offset0:4 offset1:5
	;; [unrolled: 1-line block ×5, first 2 shown]
	ds_write_b32 v8, v15 offset:48
	s_waitcnt lgkmcnt(0)
	s_barrier
	buffer_gl0_inv
	ds_read2_b32 v[25:26], v10 offset0:13 offset1:15
	ds_read2_b32 v[27:28], v10 offset0:17 offset1:19
	;; [unrolled: 1-line block ×3, first 2 shown]
	ds_read_b32 v33, v12
	ds_read_b32 v32, v59
	;; [unrolled: 1-line block ×6, first 2 shown]
	v_mov_b32_e32 v19, 0
	v_mov_b32_e32 v20, 0
	s_and_saveexec_b32 s1, s0
	s_cbranch_execz .LBB0_17
; %bb.16:
	ds_read2_b32 v[15:16], v6 offset0:12 offset1:25
	v_mov_b32_e32 v19, 12
	v_mov_b32_e32 v20, 0
.LBB0_17:
	s_or_b32 exec_lo, exec_lo, s1
	s_and_saveexec_b32 s1, vcc_lo
	s_cbranch_execz .LBB0_20
; %bb.18:
	v_mov_b32_e32 v6, 0
	v_add_nc_u32_e32 v61, 13, v47
	v_mad_u64_u32 v[41:42], null, s2, v52, 0
	v_mad_u64_u32 v[43:44], null, s2, v51, 0
	v_mov_b32_e32 v12, v6
	v_lshlrev_b64 v[37:38], 3, v[5:6]
	v_mov_b32_e32 v10, v6
	v_mov_b32_e32 v8, v6
	v_mad_u64_u32 v[39:40], null, s2, v61, 0
	v_lshlrev_b64 v[11:12], 3, v[11:12]
	v_lshlrev_b64 v[9:10], 3, v[9:10]
	v_add_co_u32 v37, vcc_lo, s8, v37
	v_add_co_ci_u32_e32 v38, vcc_lo, s9, v38, vcc_lo
	v_lshlrev_b64 v[7:8], 3, v[7:8]
	v_add_co_u32 v11, vcc_lo, s8, v11
	v_add_co_ci_u32_e32 v12, vcc_lo, s9, v12, vcc_lo
	v_add_co_u32 v9, vcc_lo, s8, v9
	v_add_co_ci_u32_e32 v10, vcc_lo, s9, v10, vcc_lo
	v_mov_b32_e32 v5, v6
	v_add_co_u32 v6, vcc_lo, s8, v7
	v_add_co_ci_u32_e32 v7, vcc_lo, s9, v8, vcc_lo
	v_mov_b32_e32 v8, v40
	v_add_nc_u32_e32 v40, 15, v47
	v_mov_b32_e32 v20, v42
	v_mad_u64_u32 v[64:65], null, s2, v49, 0
	v_mad_u64_u32 v[61:62], null, s3, v61, v[8:9]
	;; [unrolled: 1-line block ×4, first 2 shown]
	v_mov_b32_e32 v20, v44
	s_clause 0x1
	global_load_dwordx2 v[37:38], v[37:38], off
	global_load_dwordx2 v[11:12], v[11:12], off
	v_mad_u64_u32 v[72:73], null, s2, v48, 0
	v_mov_b32_e32 v8, v60
	v_add_nc_u32_e32 v60, 17, v47
	v_mov_b32_e32 v42, v45
	v_mad_u64_u32 v[44:45], null, s3, v51, v[20:21]
	v_mad_u64_u32 v[45:46], null, s2, v50, 0
	;; [unrolled: 1-line block ×4, first 2 shown]
	v_add_nc_u32_e32 v52, 21, v47
	v_add_nc_u32_e32 v40, 19, v47
	v_mov_b32_e32 v8, v46
	v_lshlrev_b64 v[4:5], 3, v[4:5]
	v_mov_b32_e32 v20, v63
	v_lshlrev_b64 v[0:1], 3, v[0:1]
	v_mad_u64_u32 v[66:67], null, s2, v40, 0
	v_mad_u64_u32 v[68:69], null, s3, v50, v[8:9]
	;; [unrolled: 1-line block ×4, first 2 shown]
	v_mov_b32_e32 v8, v65
	v_mov_b32_e32 v20, v67
	;; [unrolled: 1-line block ×3, first 2 shown]
	v_add_co_u32 v4, vcc_lo, s8, v4
	v_mad_u64_u32 v[49:50], null, s3, v49, v[8:9]
	v_mov_b32_e32 v8, v71
	v_mad_u64_u32 v[67:68], null, s3, v40, v[20:21]
	v_mov_b32_e32 v20, v73
	v_add_co_ci_u32_e32 v5, vcc_lo, s9, v5, vcc_lo
	v_mad_u64_u32 v[74:75], null, s3, v52, v[8:9]
	global_load_dwordx2 v[9:10], v[9:10], off
	v_mad_u64_u32 v[75:76], null, s3, v48, v[20:21]
	v_lshlrev_b32_e32 v20, 3, v47
	s_clause 0x1
	global_load_dwordx2 v[6:7], v[6:7], off
	global_load_dwordx2 v[4:5], v[4:5], off
	v_add_nc_u32_e32 v40, 23, v47
	v_mov_b32_e32 v65, v49
	v_add_co_u32 v2, vcc_lo, s12, v2
	global_load_dwordx2 v[76:77], v20, s[8:9]
	v_mad_u64_u32 v[49:50], null, s2, v40, 0
	v_add_co_ci_u32_e32 v3, vcc_lo, s13, v3, vcc_lo
	v_lshlrev_b64 v[41:42], 3, v[41:42]
	v_add_co_u32 v0, vcc_lo, v2, v0
	v_lshlrev_b64 v[43:44], 3, v[43:44]
	v_add_co_ci_u32_e32 v1, vcc_lo, v3, v1, vcc_lo
	v_mov_b32_e32 v8, v50
	v_lshlrev_b64 v[45:46], 3, v[45:46]
	v_add_co_u32 v41, vcc_lo, v2, v41
	v_mov_b32_e32 v73, v75
	v_add_co_ci_u32_e32 v42, vcc_lo, v3, v42, vcc_lo
	v_mov_b32_e32 v60, v51
	v_lshlrev_b64 v[51:52], 3, v[64:65]
	v_add_co_u32 v43, vcc_lo, v2, v43
	v_add_co_ci_u32_e32 v44, vcc_lo, v3, v44, vcc_lo
	v_lshlrev_b64 v[64:65], 3, v[72:73]
	v_add_co_u32 v45, vcc_lo, v2, v45
	v_mov_b32_e32 v63, v69
	v_add_co_ci_u32_e32 v46, vcc_lo, v3, v46, vcc_lo
	v_add_co_u32 v51, vcc_lo, v2, v51
	v_add_co_ci_u32_e32 v52, vcc_lo, v3, v52, vcc_lo
	v_mov_b32_e32 v71, v74
	s_waitcnt vmcnt(5) lgkmcnt(6)
	v_mul_f32_e32 v20, v30, v38
	v_fmac_f32_e32 v20, v24, v37
	s_waitcnt vmcnt(3)
	v_mad_u64_u32 v[47:48], null, s3, v40, v[8:9]
	v_mov_b32_e32 v40, v61
	v_mul_f32_e32 v8, v24, v38
	v_mul_f32_e32 v24, v23, v12
	;; [unrolled: 1-line block ×3, first 2 shown]
	s_waitcnt vmcnt(1)
	v_mul_f32_e32 v68, v26, v5
	v_lshlrev_b64 v[39:40], 3, v[39:40]
	v_mov_b32_e32 v50, v47
	v_lshlrev_b64 v[47:48], 3, v[59:60]
	v_lshlrev_b64 v[59:60], 3, v[62:63]
	v_add_co_u32 v63, vcc_lo, v2, v64
	v_add_co_ci_u32_e32 v64, vcc_lo, v3, v65, vcc_lo
	v_add_co_u32 v39, vcc_lo, v2, v39
	v_add_co_ci_u32_e32 v40, vcc_lo, v3, v40, vcc_lo
	v_lshlrev_b64 v[61:62], 3, v[66:67]
	v_add_co_u32 v47, vcc_lo, v2, v47
	v_add_co_ci_u32_e32 v48, vcc_lo, v3, v48, vcc_lo
	v_lshlrev_b64 v[66:67], 3, v[70:71]
	v_add_co_u32 v59, vcc_lo, v2, v59
	v_add_co_ci_u32_e32 v60, vcc_lo, v3, v60, vcc_lo
	v_add_co_u32 v61, vcc_lo, v2, v61
	v_add_co_ci_u32_e32 v62, vcc_lo, v3, v62, vcc_lo
	;; [unrolled: 2-line block ×3, first 2 shown]
	v_fma_f32 v8, v30, v37, -v8
	v_mul_f32_e32 v30, v22, v10
	v_mul_f32_e32 v37, v28, v10
	;; [unrolled: 1-line block ×4, first 2 shown]
	s_waitcnt vmcnt(0)
	v_mul_f32_e32 v5, v17, v77
	v_mul_f32_e32 v69, v25, v77
	;; [unrolled: 1-line block ×3, first 2 shown]
	v_fmac_f32_e32 v12, v23, v11
	v_fmac_f32_e32 v37, v22, v9
	v_fma_f32 v22, v27, v6, -v10
	v_fma_f32 v23, v25, v76, -v5
	v_fmac_f32_e32 v69, v17, v76
	v_sub_f32_e32 v7, v58, v20
	v_fma_f32 v20, v29, v11, -v24
	v_fmac_f32_e32 v38, v21, v6
	v_fma_f32 v6, v26, v4, -v67
	v_fmac_f32_e32 v68, v18, v4
	v_fma_f32 v11, v28, v9, -v30
	s_waitcnt lgkmcnt(3)
	v_sub_f32_e32 v18, v31, v22
	v_sub_f32_e32 v23, v33, v23
	;; [unrolled: 1-line block ×3, first 2 shown]
	v_lshlrev_b64 v[49:50], 3, v[49:50]
	s_waitcnt lgkmcnt(1)
	v_sub_f32_e32 v10, v35, v20
	v_sub_f32_e32 v21, v32, v6
	;; [unrolled: 1-line block ×4, first 2 shown]
	s_waitcnt lgkmcnt(0)
	v_sub_f32_e32 v8, v36, v8
	v_sub_f32_e32 v9, v57, v12
	;; [unrolled: 1-line block ×4, first 2 shown]
	v_fma_f32 v29, v33, 2.0, -v23
	v_fma_f32 v28, v55, 2.0, -v22
	;; [unrolled: 1-line block ×4, first 2 shown]
	v_add_co_u32 v49, vcc_lo, v2, v49
	v_fma_f32 v31, v31, 2.0, -v18
	v_fma_f32 v30, v53, 2.0, -v17
	v_add_co_ci_u32_e32 v50, vcc_lo, v3, v50, vcc_lo
	v_fma_f32 v5, v36, 2.0, -v8
	v_fma_f32 v4, v58, 2.0, -v7
	v_fma_f32 v25, v35, 2.0, -v10
	v_fma_f32 v24, v57, 2.0, -v9
	v_fma_f32 v27, v34, 2.0, -v12
	v_fma_f32 v26, v56, 2.0, -v11
	global_store_dwordx2 v[0:1], v[28:29], off
	global_store_dwordx2 v[39:40], v[22:23], off
	;; [unrolled: 1-line block ×12, first 2 shown]
	s_and_b32 exec_lo, exec_lo, s0
	s_cbranch_execz .LBB0_20
; %bb.19:
	v_lshlrev_b32_e32 v0, 3, v19
	v_mad_u64_u32 v[4:5], null, 0x60, s2, v[2:3]
	v_mad_u64_u32 v[2:3], null, 0xc8, s2, v[2:3]
	global_load_dwordx2 v[0:1], v0, s[8:9]
	v_mad_u64_u32 v[5:6], null, 0x60, s3, v[5:6]
	s_waitcnt vmcnt(0)
	v_mul_f32_e32 v7, v16, v1
	v_mul_f32_e32 v8, v14, v1
	v_mov_b32_e32 v1, v3
	v_fmac_f32_e32 v7, v14, v0
	v_fma_f32 v3, v16, v0, -v8
	v_mad_u64_u32 v[0:1], null, 0xc8, s3, v[1:2]
	v_sub_f32_e32 v6, v13, v7
	v_sub_f32_e32 v7, v15, v3
	v_mov_b32_e32 v3, v0
	v_fma_f32 v8, v13, 2.0, -v6
	v_fma_f32 v9, v15, 2.0, -v7
	global_store_dwordx2 v[4:5], v[8:9], off
	global_store_dwordx2 v[2:3], v[6:7], off
.LBB0_20:
	s_endpgm
	.section	.rodata,"a",@progbits
	.p2align	6, 0x0
	.amdhsa_kernel fft_rtc_back_len26_factors_13_2_wgs_64_tpt_2_halfLds_sp_ip_CI_sbrr_dirReg
		.amdhsa_group_segment_fixed_size 0
		.amdhsa_private_segment_fixed_size 0
		.amdhsa_kernarg_size 88
		.amdhsa_user_sgpr_count 6
		.amdhsa_user_sgpr_private_segment_buffer 1
		.amdhsa_user_sgpr_dispatch_ptr 0
		.amdhsa_user_sgpr_queue_ptr 0
		.amdhsa_user_sgpr_kernarg_segment_ptr 1
		.amdhsa_user_sgpr_dispatch_id 0
		.amdhsa_user_sgpr_flat_scratch_init 0
		.amdhsa_user_sgpr_private_segment_size 0
		.amdhsa_wavefront_size32 1
		.amdhsa_uses_dynamic_stack 0
		.amdhsa_system_sgpr_private_segment_wavefront_offset 0
		.amdhsa_system_sgpr_workgroup_id_x 1
		.amdhsa_system_sgpr_workgroup_id_y 0
		.amdhsa_system_sgpr_workgroup_id_z 0
		.amdhsa_system_sgpr_workgroup_info 0
		.amdhsa_system_vgpr_workitem_id 0
		.amdhsa_next_free_vgpr 78
		.amdhsa_next_free_sgpr 23
		.amdhsa_reserve_vcc 1
		.amdhsa_reserve_flat_scratch 0
		.amdhsa_float_round_mode_32 0
		.amdhsa_float_round_mode_16_64 0
		.amdhsa_float_denorm_mode_32 3
		.amdhsa_float_denorm_mode_16_64 3
		.amdhsa_dx10_clamp 1
		.amdhsa_ieee_mode 1
		.amdhsa_fp16_overflow 0
		.amdhsa_workgroup_processor_mode 1
		.amdhsa_memory_ordered 1
		.amdhsa_forward_progress 0
		.amdhsa_shared_vgpr_count 0
		.amdhsa_exception_fp_ieee_invalid_op 0
		.amdhsa_exception_fp_denorm_src 0
		.amdhsa_exception_fp_ieee_div_zero 0
		.amdhsa_exception_fp_ieee_overflow 0
		.amdhsa_exception_fp_ieee_underflow 0
		.amdhsa_exception_fp_ieee_inexact 0
		.amdhsa_exception_int_div_zero 0
	.end_amdhsa_kernel
	.text
.Lfunc_end0:
	.size	fft_rtc_back_len26_factors_13_2_wgs_64_tpt_2_halfLds_sp_ip_CI_sbrr_dirReg, .Lfunc_end0-fft_rtc_back_len26_factors_13_2_wgs_64_tpt_2_halfLds_sp_ip_CI_sbrr_dirReg
                                        ; -- End function
	.section	.AMDGPU.csdata,"",@progbits
; Kernel info:
; codeLenInByte = 6476
; NumSgprs: 25
; NumVgprs: 78
; ScratchSize: 0
; MemoryBound: 0
; FloatMode: 240
; IeeeMode: 1
; LDSByteSize: 0 bytes/workgroup (compile time only)
; SGPRBlocks: 3
; VGPRBlocks: 9
; NumSGPRsForWavesPerEU: 25
; NumVGPRsForWavesPerEU: 78
; Occupancy: 12
; WaveLimiterHint : 1
; COMPUTE_PGM_RSRC2:SCRATCH_EN: 0
; COMPUTE_PGM_RSRC2:USER_SGPR: 6
; COMPUTE_PGM_RSRC2:TRAP_HANDLER: 0
; COMPUTE_PGM_RSRC2:TGID_X_EN: 1
; COMPUTE_PGM_RSRC2:TGID_Y_EN: 0
; COMPUTE_PGM_RSRC2:TGID_Z_EN: 0
; COMPUTE_PGM_RSRC2:TIDIG_COMP_CNT: 0
	.text
	.p2alignl 6, 3214868480
	.fill 48, 4, 3214868480
	.type	__hip_cuid_6de9b41c1bafc0d5,@object ; @__hip_cuid_6de9b41c1bafc0d5
	.section	.bss,"aw",@nobits
	.globl	__hip_cuid_6de9b41c1bafc0d5
__hip_cuid_6de9b41c1bafc0d5:
	.byte	0                               ; 0x0
	.size	__hip_cuid_6de9b41c1bafc0d5, 1

	.ident	"AMD clang version 19.0.0git (https://github.com/RadeonOpenCompute/llvm-project roc-6.4.0 25133 c7fe45cf4b819c5991fe208aaa96edf142730f1d)"
	.section	".note.GNU-stack","",@progbits
	.addrsig
	.addrsig_sym __hip_cuid_6de9b41c1bafc0d5
	.amdgpu_metadata
---
amdhsa.kernels:
  - .args:
      - .actual_access:  read_only
        .address_space:  global
        .offset:         0
        .size:           8
        .value_kind:     global_buffer
      - .offset:         8
        .size:           8
        .value_kind:     by_value
      - .actual_access:  read_only
        .address_space:  global
        .offset:         16
        .size:           8
        .value_kind:     global_buffer
      - .actual_access:  read_only
        .address_space:  global
        .offset:         24
        .size:           8
        .value_kind:     global_buffer
      - .offset:         32
        .size:           8
        .value_kind:     by_value
      - .actual_access:  read_only
        .address_space:  global
        .offset:         40
        .size:           8
        .value_kind:     global_buffer
      - .actual_access:  read_only
        .address_space:  global
        .offset:         48
        .size:           8
        .value_kind:     global_buffer
      - .offset:         56
        .size:           4
        .value_kind:     by_value
      - .actual_access:  read_only
        .address_space:  global
        .offset:         64
        .size:           8
        .value_kind:     global_buffer
      - .actual_access:  read_only
        .address_space:  global
        .offset:         72
        .size:           8
        .value_kind:     global_buffer
      - .address_space:  global
        .offset:         80
        .size:           8
        .value_kind:     global_buffer
    .group_segment_fixed_size: 0
    .kernarg_segment_align: 8
    .kernarg_segment_size: 88
    .language:       OpenCL C
    .language_version:
      - 2
      - 0
    .max_flat_workgroup_size: 64
    .name:           fft_rtc_back_len26_factors_13_2_wgs_64_tpt_2_halfLds_sp_ip_CI_sbrr_dirReg
    .private_segment_fixed_size: 0
    .sgpr_count:     25
    .sgpr_spill_count: 0
    .symbol:         fft_rtc_back_len26_factors_13_2_wgs_64_tpt_2_halfLds_sp_ip_CI_sbrr_dirReg.kd
    .uniform_work_group_size: 1
    .uses_dynamic_stack: false
    .vgpr_count:     78
    .vgpr_spill_count: 0
    .wavefront_size: 32
    .workgroup_processor_mode: 1
amdhsa.target:   amdgcn-amd-amdhsa--gfx1030
amdhsa.version:
  - 1
  - 2
...

	.end_amdgpu_metadata
